;; amdgpu-corpus repo=ROCm/rocFFT kind=compiled arch=gfx906 opt=O3
	.text
	.amdgcn_target "amdgcn-amd-amdhsa--gfx906"
	.amdhsa_code_object_version 6
	.protected	bluestein_single_fwd_len576_dim1_sp_op_CI_CI ; -- Begin function bluestein_single_fwd_len576_dim1_sp_op_CI_CI
	.globl	bluestein_single_fwd_len576_dim1_sp_op_CI_CI
	.p2align	8
	.type	bluestein_single_fwd_len576_dim1_sp_op_CI_CI,@function
bluestein_single_fwd_len576_dim1_sp_op_CI_CI: ; @bluestein_single_fwd_len576_dim1_sp_op_CI_CI
; %bb.0:
	s_load_dwordx4 s[0:3], s[4:5], 0x28
	v_mul_u32_u24_e32 v1, 0x2ab, v0
	v_add_u32_sdwa v48, s6, v1 dst_sel:DWORD dst_unused:UNUSED_PAD src0_sel:DWORD src1_sel:WORD_1
	v_mov_b32_e32 v49, 0
	s_waitcnt lgkmcnt(0)
	v_cmp_gt_u64_e32 vcc, s[0:1], v[48:49]
	s_and_saveexec_b64 s[0:1], vcc
	s_cbranch_execz .LBB0_15
; %bb.1:
	s_load_dwordx2 s[8:9], s[4:5], 0x0
	s_load_dwordx2 s[10:11], s[4:5], 0x38
	s_movk_i32 s0, 0x60
	v_mul_lo_u16_sdwa v1, v1, s0 dst_sel:DWORD dst_unused:UNUSED_PAD src0_sel:WORD_1 src1_sel:DWORD
	v_sub_u16_e32 v54, v0, v1
	v_cmp_gt_u16_e64 s[0:1], 36, v54
	v_lshlrev_b32_e32 v53, 3, v54
	s_and_saveexec_b64 s[6:7], s[0:1]
	s_cbranch_execz .LBB0_3
; %bb.2:
	s_load_dwordx2 s[12:13], s[4:5], 0x18
	s_waitcnt lgkmcnt(0)
	s_load_dwordx4 s[12:15], s[12:13], 0x0
	s_waitcnt lgkmcnt(0)
	v_mad_u64_u32 v[0:1], s[16:17], s14, v48, 0
	v_mad_u64_u32 v[2:3], s[16:17], s12, v54, 0
	;; [unrolled: 1-line block ×4, first 2 shown]
	v_mov_b32_e32 v1, v4
	v_lshlrev_b64 v[0:1], 3, v[0:1]
	v_mov_b32_e32 v3, v5
	v_mov_b32_e32 v6, s3
	v_lshlrev_b64 v[2:3], 3, v[2:3]
	v_add_co_u32_e32 v0, vcc, s2, v0
	v_addc_co_u32_e32 v1, vcc, v6, v1, vcc
	v_add_co_u32_e32 v0, vcc, v0, v2
	s_mul_i32 s2, s13, 0x120
	s_mul_hi_u32 s3, s12, 0x120
	v_addc_co_u32_e32 v1, vcc, v1, v3, vcc
	s_add_i32 s2, s3, s2
	s_mul_i32 s3, s12, 0x120
	v_mov_b32_e32 v3, s2
	v_add_co_u32_e32 v2, vcc, s3, v0
	v_addc_co_u32_e32 v3, vcc, v1, v3, vcc
	v_mov_b32_e32 v5, s2
	v_add_co_u32_e32 v4, vcc, s3, v2
	v_addc_co_u32_e32 v5, vcc, v3, v5, vcc
	;; [unrolled: 3-line block ×3, first 2 shown]
	global_load_dwordx2 v[6:7], v53, s[8:9] offset:288
	global_load_dwordx2 v[8:9], v53, s[8:9] offset:576
	global_load_dwordx2 v[12:13], v[0:1], off
	global_load_dwordx2 v[14:15], v[2:3], off
	;; [unrolled: 1-line block ×4, first 2 shown]
	v_mov_b32_e32 v1, s2
	v_add_co_u32_e32 v0, vcc, s3, v10
	v_addc_co_u32_e32 v1, vcc, v11, v1, vcc
	v_mov_b32_e32 v4, s9
	v_add_co_u32_e32 v5, vcc, s8, v53
	v_addc_co_u32_e32 v10, vcc, 0, v4, vcc
	v_add_co_u32_e32 v4, vcc, 0x1000, v5
	v_addc_co_u32_e32 v5, vcc, 0, v10, vcc
	global_load_dwordx2 v[2:3], v[0:1], off
	global_load_dwordx2 v[10:11], v53, s[8:9]
	global_load_dwordx2 v[20:21], v[4:5], off offset:224
	global_load_dwordx2 v[22:23], v53, s[8:9] offset:864
	global_load_dwordx2 v[24:25], v53, s[8:9] offset:1152
	;; [unrolled: 1-line block ×4, first 2 shown]
	v_mov_b32_e32 v4, s2
	v_add_co_u32_e32 v0, vcc, s3, v0
	v_addc_co_u32_e32 v1, vcc, v1, v4, vcc
	v_mov_b32_e32 v5, s2
	v_add_co_u32_e32 v4, vcc, s3, v0
	v_addc_co_u32_e32 v5, vcc, v1, v5, vcc
	v_mov_b32_e32 v34, s2
	global_load_dwordx2 v[30:31], v[0:1], off
	global_load_dwordx2 v[32:33], v[4:5], off
	v_add_co_u32_e32 v0, vcc, s3, v4
	v_addc_co_u32_e32 v1, vcc, v5, v34, vcc
	global_load_dwordx2 v[4:5], v[0:1], off
	v_add_co_u32_e32 v0, vcc, s3, v0
	v_addc_co_u32_e32 v1, vcc, v1, v34, vcc
	global_load_dwordx2 v[34:35], v[0:1], off
	v_mov_b32_e32 v36, s2
	v_add_co_u32_e32 v0, vcc, s3, v0
	v_addc_co_u32_e32 v1, vcc, v1, v36, vcc
	global_load_dwordx2 v[36:37], v[0:1], off
	global_load_dwordx2 v[38:39], v53, s[8:9] offset:2016
	global_load_dwordx2 v[40:41], v53, s[8:9] offset:2304
	;; [unrolled: 1-line block ×4, first 2 shown]
	v_mov_b32_e32 v46, s2
	v_add_co_u32_e32 v0, vcc, s3, v0
	v_addc_co_u32_e32 v1, vcc, v1, v46, vcc
	global_load_dwordx2 v[46:47], v[0:1], off
	v_mov_b32_e32 v49, s2
	v_add_co_u32_e32 v0, vcc, s3, v0
	v_addc_co_u32_e32 v1, vcc, v1, v49, vcc
	global_load_dwordx2 v[49:50], v[0:1], off
	global_load_dwordx2 v[51:52], v53, s[8:9] offset:3168
	v_mov_b32_e32 v55, s2
	v_add_co_u32_e32 v0, vcc, s3, v0
	v_addc_co_u32_e32 v1, vcc, v1, v55, vcc
	global_load_dwordx2 v[55:56], v[0:1], off
	v_mov_b32_e32 v57, s2
	v_add_co_u32_e32 v0, vcc, s3, v0
	v_addc_co_u32_e32 v1, vcc, v1, v57, vcc
	global_load_dwordx2 v[57:58], v[0:1], off
	global_load_dwordx2 v[59:60], v53, s[8:9] offset:3456
	global_load_dwordx2 v[61:62], v53, s[8:9] offset:3744
	v_mov_b32_e32 v63, s2
	v_add_co_u32_e32 v0, vcc, s3, v0
	v_addc_co_u32_e32 v1, vcc, v1, v63, vcc
	global_load_dwordx2 v[63:64], v[0:1], off
	global_load_dwordx2 v[65:66], v53, s[8:9] offset:4032
	v_mov_b32_e32 v67, s2
	v_add_co_u32_e32 v0, vcc, s3, v0
	v_addc_co_u32_e32 v1, vcc, v1, v67, vcc
	global_load_dwordx2 v[0:1], v[0:1], off
	s_waitcnt vmcnt(24)
	v_mul_f32_e32 v67, v13, v11
	v_mul_f32_e32 v11, v12, v11
	v_fmac_f32_e32 v67, v12, v10
	v_fma_f32 v68, v13, v10, -v11
	v_mul_f32_e32 v10, v14, v7
	v_fma_f32 v11, v15, v6, -v10
	v_mul_f32_e32 v10, v15, v7
	v_fmac_f32_e32 v10, v14, v6
	ds_write2_b64 v53, v[67:68], v[10:11] offset1:36
	v_mul_f32_e32 v6, v17, v9
	v_mul_f32_e32 v7, v16, v9
	s_waitcnt vmcnt(21)
	v_mul_f32_e32 v10, v3, v25
	v_fmac_f32_e32 v6, v16, v8
	v_fma_f32 v7, v17, v8, -v7
	v_mul_f32_e32 v8, v19, v23
	v_mul_f32_e32 v9, v18, v23
	;; [unrolled: 1-line block ×3, first 2 shown]
	v_fmac_f32_e32 v10, v2, v24
	s_waitcnt vmcnt(18)
	v_mul_f32_e32 v2, v30, v27
	v_fmac_f32_e32 v8, v18, v22
	v_fma_f32 v9, v19, v22, -v9
	v_fma_f32 v11, v3, v24, -v11
	;; [unrolled: 1-line block ×3, first 2 shown]
	v_mul_f32_e32 v2, v31, v27
	ds_write2_b64 v53, v[6:7], v[8:9] offset0:72 offset1:108
	v_fmac_f32_e32 v2, v30, v26
	ds_write2_b64 v53, v[10:11], v[2:3] offset0:144 offset1:180
	s_waitcnt vmcnt(17)
	v_mul_f32_e32 v2, v33, v29
	v_mul_f32_e32 v3, v32, v29
	v_fmac_f32_e32 v2, v32, v28
	s_waitcnt vmcnt(13)
	v_mul_f32_e32 v6, v5, v39
	v_fmac_f32_e32 v6, v4, v38
	v_mul_f32_e32 v4, v4, v39
	v_fma_f32 v3, v33, v28, -v3
	v_fma_f32 v7, v5, v38, -v4
	ds_write2_b64 v53, v[2:3], v[6:7] offset0:216 offset1:252
	s_waitcnt vmcnt(12)
	v_mul_f32_e32 v2, v35, v41
	v_mul_f32_e32 v3, v34, v41
	s_waitcnt vmcnt(11)
	v_mul_f32_e32 v4, v37, v43
	v_mul_f32_e32 v5, v36, v43
	v_fmac_f32_e32 v2, v34, v40
	v_fma_f32 v3, v35, v40, -v3
	v_fmac_f32_e32 v4, v36, v42
	v_fma_f32 v5, v37, v42, -v5
	v_add_u32_e32 v6, 0x800, v53
	ds_write2_b64 v6, v[2:3], v[4:5] offset0:32 offset1:68
	s_waitcnt vmcnt(9)
	v_mul_f32_e32 v2, v47, v45
	v_mul_f32_e32 v3, v46, v45
	s_waitcnt vmcnt(7)
	v_mul_f32_e32 v4, v50, v52
	v_mul_f32_e32 v5, v49, v52
	v_fmac_f32_e32 v2, v46, v44
	v_fma_f32 v3, v47, v44, -v3
	v_fmac_f32_e32 v4, v49, v51
	v_fma_f32 v5, v50, v51, -v5
	ds_write2_b64 v6, v[2:3], v[4:5] offset0:104 offset1:140
	s_waitcnt vmcnt(4)
	v_mul_f32_e32 v2, v56, v60
	v_mul_f32_e32 v3, v55, v60
	s_waitcnt vmcnt(3)
	v_mul_f32_e32 v4, v58, v62
	v_mul_f32_e32 v5, v57, v62
	v_fmac_f32_e32 v2, v55, v59
	v_fma_f32 v3, v56, v59, -v3
	v_fmac_f32_e32 v4, v57, v61
	v_fma_f32 v5, v58, v61, -v5
	ds_write2_b64 v6, v[2:3], v[4:5] offset0:176 offset1:212
	s_waitcnt vmcnt(1)
	v_mul_f32_e32 v2, v64, v66
	v_mul_f32_e32 v3, v63, v66
	v_fmac_f32_e32 v2, v63, v65
	v_fma_f32 v3, v64, v65, -v3
	s_waitcnt vmcnt(0)
	v_mul_f32_e32 v4, v1, v21
	v_fmac_f32_e32 v4, v0, v20
	v_mul_f32_e32 v0, v0, v21
	v_fma_f32 v5, v1, v20, -v0
	v_add_u32_e32 v0, 0xc00, v53
	ds_write2_b64 v0, v[2:3], v[4:5] offset0:120 offset1:156
.LBB0_3:
	s_or_b64 exec, exec, s[6:7]
	s_load_dwordx2 s[6:7], s[4:5], 0x20
	s_load_dwordx2 s[2:3], s[4:5], 0x8
	s_waitcnt lgkmcnt(0)
	s_barrier
	s_waitcnt lgkmcnt(0)
                                        ; implicit-def: $vgpr18
                                        ; implicit-def: $vgpr26
                                        ; implicit-def: $vgpr22
                                        ; implicit-def: $vgpr30
                                        ; implicit-def: $vgpr2
                                        ; implicit-def: $vgpr10
                                        ; implicit-def: $vgpr6
                                        ; implicit-def: $vgpr14
	s_and_saveexec_b64 s[4:5], s[0:1]
	s_cbranch_execz .LBB0_5
; %bb.4:
	ds_read2_b64 v[12:15], v53 offset1:36
	ds_read2_b64 v[4:7], v53 offset0:72 offset1:108
	ds_read2_b64 v[8:11], v53 offset0:144 offset1:180
	;; [unrolled: 1-line block ×3, first 2 shown]
	v_add_u32_e32 v16, 0x800, v53
	ds_read2_b64 v[28:31], v16 offset0:32 offset1:68
	ds_read2_b64 v[20:23], v16 offset0:104 offset1:140
	;; [unrolled: 1-line block ×3, first 2 shown]
	v_add_u32_e32 v16, 0xc00, v53
	ds_read2_b64 v[16:19], v16 offset0:120 offset1:156
.LBB0_5:
	s_or_b64 exec, exec, s[4:5]
	s_waitcnt lgkmcnt(3)
	v_sub_f32_e32 v28, v12, v28
	v_sub_f32_e32 v29, v13, v29
	s_waitcnt lgkmcnt(1)
	v_sub_f32_e32 v24, v8, v24
	v_sub_f32_e32 v25, v9, v25
	;; [unrolled: 1-line block ×4, first 2 shown]
	s_waitcnt lgkmcnt(0)
	v_sub_f32_e32 v16, v0, v16
	v_sub_f32_e32 v17, v1, v17
	;; [unrolled: 1-line block ×3, first 2 shown]
	v_add_f32_e32 v35, v24, v29
	v_fma_f32 v8, v8, 2.0, -v24
	v_fma_f32 v9, v9, 2.0, -v25
	v_fma_f32 v32, v0, 2.0, -v16
	v_fma_f32 v33, v1, 2.0, -v17
	v_fma_f32 v24, v28, 2.0, -v34
	v_fma_f32 v25, v29, 2.0, -v35
	v_sub_f32_e32 v17, v20, v17
	v_add_f32_e32 v16, v16, v21
	v_mov_b32_e32 v36, v34
	v_mov_b32_e32 v37, v35
	v_sub_f32_e32 v30, v14, v30
	v_sub_f32_e32 v31, v15, v31
	;; [unrolled: 1-line block ×4, first 2 shown]
	v_fma_f32 v4, v4, 2.0, -v20
	v_fma_f32 v5, v5, 2.0, -v21
	;; [unrolled: 1-line block ×4, first 2 shown]
	v_mov_b32_e32 v0, v24
	v_mov_b32_e32 v1, v25
	v_fmac_f32_e32 v36, 0x3f3504f3, v17
	v_fmac_f32_e32 v37, 0x3f3504f3, v16
	v_sub_f32_e32 v22, v6, v22
	v_sub_f32_e32 v23, v7, v23
	;; [unrolled: 1-line block ×4, first 2 shown]
	v_fmac_f32_e32 v0, 0xbf3504f3, v20
	v_fmac_f32_e32 v1, 0xbf3504f3, v21
	v_fmac_f32_e32 v36, 0xbf3504f3, v16
	v_fmac_f32_e32 v37, 0x3f3504f3, v17
	v_sub_f32_e32 v16, v30, v27
	v_add_f32_e32 v17, v26, v31
	v_fma_f32 v2, v2, 2.0, -v18
	v_fma_f32 v3, v3, 2.0, -v19
	v_fmac_f32_e32 v0, 0xbf3504f3, v21
	v_fmac_f32_e32 v1, 0x3f3504f3, v20
	v_fma_f32 v20, v30, 2.0, -v16
	v_fma_f32 v21, v31, 2.0, -v17
	v_sub_f32_e32 v19, v22, v19
	v_add_f32_e32 v18, v18, v23
	v_fma_f32 v6, v6, 2.0, -v22
	v_fma_f32 v7, v7, 2.0, -v23
	;; [unrolled: 1-line block ×4, first 2 shown]
	v_mov_b32_e32 v38, v20
	v_mov_b32_e32 v39, v21
	v_fmac_f32_e32 v38, 0xbf3504f3, v22
	v_fmac_f32_e32 v39, 0xbf3504f3, v23
	;; [unrolled: 1-line block ×4, first 2 shown]
	v_mov_b32_e32 v22, v16
	v_mov_b32_e32 v23, v17
	v_fma_f32 v12, v12, 2.0, -v28
	v_fma_f32 v13, v13, 2.0, -v29
	;; [unrolled: 1-line block ×6, first 2 shown]
	v_fmac_f32_e32 v22, 0x3f3504f3, v19
	v_fmac_f32_e32 v23, 0x3f3504f3, v18
	;; [unrolled: 1-line block ×4, first 2 shown]
	v_sub_f32_e32 v18, v12, v8
	v_sub_f32_e32 v19, v13, v9
	;; [unrolled: 1-line block ×4, first 2 shown]
	v_fma_f32 v8, v12, 2.0, -v18
	v_fma_f32 v9, v13, 2.0, -v19
	v_sub_f32_e32 v12, v4, v32
	v_sub_f32_e32 v13, v5, v33
	v_fma_f32 v10, v14, 2.0, -v26
	v_fma_f32 v11, v15, 2.0, -v27
	v_sub_f32_e32 v14, v6, v2
	v_sub_f32_e32 v15, v7, v3
	v_fma_f32 v4, v4, 2.0, -v12
	v_fma_f32 v5, v5, 2.0, -v13
	;; [unrolled: 1-line block ×4, first 2 shown]
	v_sub_f32_e32 v4, v8, v4
	v_sub_f32_e32 v5, v9, v5
	v_sub_f32_e32 v29, v10, v6
	v_sub_f32_e32 v28, v11, v7
	v_fma_f32 v2, v8, 2.0, -v4
	v_fma_f32 v3, v9, 2.0, -v5
	;; [unrolled: 1-line block ×4, first 2 shown]
	v_sub_f32_e32 v8, v2, v6
	v_sub_f32_e32 v9, v3, v7
	v_fma_f32 v6, v24, 2.0, -v0
	v_fma_f32 v7, v25, 2.0, -v1
	;; [unrolled: 1-line block ×4, first 2 shown]
	v_mov_b32_e32 v10, v6
	v_mov_b32_e32 v11, v7
	v_fmac_f32_e32 v10, 0xbf6c835e, v20
	v_fmac_f32_e32 v11, 0xbf6c835e, v21
	;; [unrolled: 1-line block ×4, first 2 shown]
	v_sub_f32_e32 v20, v18, v13
	v_add_f32_e32 v21, v12, v19
	v_fma_f32 v12, v18, 2.0, -v20
	v_fma_f32 v13, v19, 2.0, -v21
	v_sub_f32_e32 v18, v26, v15
	v_add_f32_e32 v19, v14, v27
	v_fma_f32 v14, v26, 2.0, -v18
	v_fma_f32 v15, v27, 2.0, -v19
	v_mov_b32_e32 v24, v12
	v_mov_b32_e32 v25, v13
	v_fmac_f32_e32 v24, 0xbf3504f3, v14
	v_fmac_f32_e32 v25, 0xbf3504f3, v15
	;; [unrolled: 1-line block ×4, first 2 shown]
	v_fma_f32 v14, v34, 2.0, -v36
	v_fma_f32 v15, v35, 2.0, -v37
	v_mov_b32_e32 v32, v20
	v_mov_b32_e32 v33, v21
	v_mov_b32_e32 v34, v36
	v_mov_b32_e32 v35, v37
	v_fma_f32 v16, v16, 2.0, -v22
	v_fma_f32 v17, v17, 2.0, -v23
	v_mov_b32_e32 v26, v14
	v_mov_b32_e32 v27, v15
	;; [unrolled: 1-line block ×4, first 2 shown]
	v_fmac_f32_e32 v32, 0x3f3504f3, v18
	v_fmac_f32_e32 v33, 0x3f3504f3, v19
	;; [unrolled: 1-line block ×14, first 2 shown]
	v_sub_f32_e32 v28, v4, v28
	v_add_f32_e32 v29, v29, v5
	v_fmac_f32_e32 v30, 0xbf6c835e, v39
	v_fmac_f32_e32 v31, 0x3f6c835e, v38
	v_fma_f32 v20, v20, 2.0, -v32
	v_fma_f32 v21, v21, 2.0, -v33
	;; [unrolled: 1-line block ×4, first 2 shown]
	v_lshlrev_b16_e32 v55, 4, v54
	s_barrier
	s_and_saveexec_b64 s[4:5], s[0:1]
	s_cbranch_execz .LBB0_7
; %bb.6:
	v_fma_f32 v18, v0, 2.0, -v30
	v_fma_f32 v17, v5, 2.0, -v29
	;; [unrolled: 1-line block ×7, first 2 shown]
	v_lshlrev_b32_e32 v0, 3, v55
	v_fma_f32 v19, v1, 2.0, -v31
	v_fma_f32 v15, v15, 2.0, -v27
	;; [unrolled: 1-line block ×5, first 2 shown]
	ds_write_b128 v0, v[2:5]
	ds_write_b128 v0, v[12:15] offset:16
	ds_write_b128 v0, v[16:19] offset:32
	ds_write_b128 v0, v[20:23] offset:48
	ds_write_b128 v0, v[8:11] offset:64
	ds_write_b128 v0, v[24:27] offset:80
	ds_write_b128 v0, v[28:31] offset:96
	ds_write_b128 v0, v[32:35] offset:112
.LBB0_7:
	s_or_b64 exec, exec, s[4:5]
	v_and_b32_e32 v40, 15, v54
	v_mad_u64_u32 v[12:13], s[12:13], v40, 40, s[2:3]
	s_load_dwordx4 s[4:7], s[6:7], 0x0
	s_waitcnt lgkmcnt(0)
	s_barrier
	global_load_dwordx4 v[4:7], v[12:13], off
	global_load_dwordx4 v[0:3], v[12:13], off offset:16
	global_load_dwordx2 v[49:50], v[12:13], off offset:32
	v_add_u32_e32 v58, 0x400, v53
	ds_read2_b64 v[12:15], v53 offset1:96
	v_add_u32_e32 v57, 0x800, v53
	ds_read2_b64 v[16:19], v58 offset0:64 offset1:160
	ds_read2_b64 v[36:39], v57 offset0:128 offset1:224
	v_lshrrev_b32_e32 v41, 4, v54
	v_mul_u32_u24_e32 v41, 0x60, v41
	v_or_b32_e32 v40, v41, v40
	v_lshlrev_b32_e32 v56, 3, v40
	s_waitcnt vmcnt(0) lgkmcnt(0)
	s_barrier
	v_mul_f32_e32 v41, v14, v5
	v_mul_f32_e32 v43, v16, v7
	v_mul_f32_e32 v44, v19, v1
	v_mul_f32_e32 v45, v18, v1
	v_mul_f32_e32 v47, v36, v3
	v_mul_f32_e32 v51, v39, v50
	v_mul_f32_e32 v52, v38, v50
	v_mul_f32_e32 v40, v15, v5
	v_mul_f32_e32 v42, v17, v7
	v_mul_f32_e32 v46, v37, v3
	v_fmac_f32_e32 v43, v17, v6
	v_fma_f32 v17, v18, v0, -v44
	v_fmac_f32_e32 v45, v19, v0
	v_fmac_f32_e32 v41, v15, v4
	;; [unrolled: 1-line block ×3, first 2 shown]
	v_fma_f32 v15, v38, v49, -v51
	v_fmac_f32_e32 v52, v39, v49
	v_fma_f32 v16, v16, v6, -v42
	v_fma_f32 v18, v14, v4, -v40
	;; [unrolled: 1-line block ×3, first 2 shown]
	v_sub_f32_e32 v37, v43, v47
	v_add_f32_e32 v38, v13, v43
	v_add_f32_e32 v39, v43, v47
	;; [unrolled: 1-line block ×3, first 2 shown]
	v_sub_f32_e32 v43, v45, v52
	v_add_f32_e32 v44, v41, v45
	v_add_f32_e32 v45, v45, v52
	;; [unrolled: 1-line block ×5, first 2 shown]
	v_fmac_f32_e32 v18, -0.5, v42
	v_fmac_f32_e32 v41, -0.5, v45
	v_sub_f32_e32 v16, v16, v14
	v_sub_f32_e32 v17, v17, v15
	v_add_f32_e32 v14, v19, v14
	v_fma_f32 v19, -0.5, v36, v12
	v_add_f32_e32 v36, v38, v47
	v_fma_f32 v38, -0.5, v39, v13
	v_add_f32_e32 v15, v40, v15
	v_add_f32_e32 v39, v44, v52
	v_mov_b32_e32 v44, v18
	v_fmac_f32_e32 v18, 0xbf5db3d7, v43
	v_mov_b32_e32 v45, v41
	v_mov_b32_e32 v40, v19
	v_fmac_f32_e32 v41, 0x3f5db3d7, v17
	v_add_f32_e32 v12, v14, v15
	v_add_f32_e32 v13, v36, v39
	v_sub_f32_e32 v14, v14, v15
	v_sub_f32_e32 v15, v36, v39
	v_fmac_f32_e32 v44, 0x3f5db3d7, v43
	v_fmac_f32_e32 v45, 0xbf5db3d7, v17
	v_mul_f32_e32 v36, -0.5, v18
	v_fmac_f32_e32 v19, 0xbf5db3d7, v37
	v_mov_b32_e32 v42, v38
	v_fmac_f32_e32 v40, 0x3f5db3d7, v37
	v_mul_f32_e32 v37, -0.5, v41
	v_mul_f32_e32 v39, 0x3f5db3d7, v45
	v_fmac_f32_e32 v36, 0x3f5db3d7, v41
	v_mul_f32_e32 v41, 0xbf5db3d7, v44
	v_fmac_f32_e32 v38, 0x3f5db3d7, v16
	v_fmac_f32_e32 v42, 0xbf5db3d7, v16
	;; [unrolled: 1-line block ×3, first 2 shown]
	v_fmac_f32_e32 v39, 0.5, v44
	v_fmac_f32_e32 v41, 0.5, v45
	v_add_f32_e32 v16, v19, v36
	v_add_f32_e32 v17, v38, v37
	v_sub_f32_e32 v18, v19, v36
	v_sub_f32_e32 v19, v38, v37
	v_add_f32_e32 v36, v40, v39
	v_add_f32_e32 v37, v42, v41
	v_sub_f32_e32 v38, v40, v39
	v_sub_f32_e32 v39, v42, v41
	ds_write2_b64 v56, v[12:13], v[36:37] offset1:16
	ds_write2_b64 v56, v[16:17], v[14:15] offset0:32 offset1:48
	ds_write2_b64 v56, v[38:39], v[18:19] offset0:64 offset1:80
	v_mad_u64_u32 v[36:37], s[2:3], v54, 40, s[2:3]
	s_waitcnt lgkmcnt(0)
	s_barrier
	global_load_dwordx4 v[16:19], v[36:37], off offset:640
	global_load_dwordx4 v[12:15], v[36:37], off offset:656
	global_load_dwordx2 v[51:52], v[36:37], off offset:672
	ds_read2_b64 v[36:39], v58 offset0:64 offset1:160
	ds_read2_b64 v[40:43], v57 offset0:128 offset1:224
	ds_read2_b64 v[44:47], v53 offset1:96
	s_waitcnt vmcnt(2) lgkmcnt(2)
	v_mul_f32_e32 v59, v37, v19
	v_mul_f32_e32 v60, v36, v19
	s_waitcnt vmcnt(1)
	v_mul_f32_e32 v61, v39, v13
	v_mul_f32_e32 v62, v38, v13
	s_waitcnt lgkmcnt(1)
	v_mul_f32_e32 v63, v41, v15
	s_waitcnt vmcnt(0)
	v_mul_f32_e32 v65, v43, v52
	v_mul_f32_e32 v66, v42, v52
	s_waitcnt lgkmcnt(0)
	v_mul_f32_e32 v67, v47, v17
	v_mul_f32_e32 v68, v46, v17
	;; [unrolled: 1-line block ×3, first 2 shown]
	v_fma_f32 v36, v36, v18, -v59
	v_fmac_f32_e32 v60, v37, v18
	v_fma_f32 v37, v38, v12, -v61
	v_fmac_f32_e32 v62, v39, v12
	v_fma_f32 v38, v40, v14, -v63
	v_fma_f32 v39, v42, v51, -v65
	v_fmac_f32_e32 v66, v43, v51
	v_fma_f32 v40, v46, v16, -v67
	v_fmac_f32_e32 v68, v47, v16
	v_fmac_f32_e32 v64, v41, v14
	v_add_f32_e32 v41, v36, v38
	v_add_f32_e32 v43, v44, v36
	;; [unrolled: 1-line block ×4, first 2 shown]
	v_sub_f32_e32 v61, v36, v38
	v_sub_f32_e32 v63, v62, v66
	v_add_f32_e32 v36, v62, v66
	v_add_f32_e32 v62, v37, v39
	;; [unrolled: 1-line block ×3, first 2 shown]
	v_sub_f32_e32 v65, v37, v39
	v_add_f32_e32 v38, v43, v38
	v_add_f32_e32 v39, v47, v39
	v_fmac_f32_e32 v40, -0.5, v62
	v_fmac_f32_e32 v68, -0.5, v36
	v_add_f32_e32 v46, v45, v60
	v_fma_f32 v44, -0.5, v41, v44
	v_fma_f32 v45, -0.5, v42, v45
	v_add_f32_e32 v36, v38, v39
	v_sub_f32_e32 v42, v38, v39
	v_mov_b32_e32 v38, v40
	v_mov_b32_e32 v39, v68
	v_sub_f32_e32 v60, v60, v64
	v_add_f32_e32 v43, v59, v66
	v_fmac_f32_e32 v40, 0xbf5db3d7, v63
	v_fmac_f32_e32 v68, 0x3f5db3d7, v65
	v_mov_b32_e32 v59, v44
	v_mov_b32_e32 v62, v45
	v_fmac_f32_e32 v38, 0x3f5db3d7, v63
	v_fmac_f32_e32 v39, 0xbf5db3d7, v65
	v_add_f32_e32 v41, v46, v64
	v_fmac_f32_e32 v44, 0xbf5db3d7, v60
	v_fmac_f32_e32 v45, 0x3f5db3d7, v61
	v_mul_f32_e32 v46, -0.5, v40
	v_mul_f32_e32 v47, -0.5, v68
	v_fmac_f32_e32 v59, 0x3f5db3d7, v60
	v_fmac_f32_e32 v62, 0xbf5db3d7, v61
	v_mul_f32_e32 v60, 0x3f5db3d7, v39
	v_mul_f32_e32 v61, 0xbf5db3d7, v38
	v_fmac_f32_e32 v46, 0x3f5db3d7, v68
	v_fmac_f32_e32 v47, 0xbf5db3d7, v40
	v_fmac_f32_e32 v60, 0.5, v38
	v_fmac_f32_e32 v61, 0.5, v39
	v_add_f32_e32 v37, v41, v43
	v_sub_f32_e32 v43, v41, v43
	v_add_f32_e32 v40, v44, v46
	v_add_f32_e32 v41, v45, v47
	v_sub_f32_e32 v46, v44, v46
	v_sub_f32_e32 v47, v45, v47
	v_add_f32_e32 v38, v59, v60
	v_sub_f32_e32 v44, v59, v60
	v_add_f32_e32 v39, v62, v61
	v_sub_f32_e32 v45, v62, v61
	ds_write2_b64 v58, v[40:41], v[42:43] offset0:64 offset1:160
	ds_write2_b64 v53, v[36:37], v[38:39] offset1:96
	ds_write2_b64 v57, v[44:45], v[46:47] offset0:128 offset1:224
	s_waitcnt lgkmcnt(0)
	s_barrier
	s_and_saveexec_b64 s[2:3], s[0:1]
	s_cbranch_execz .LBB0_9
; %bb.8:
	v_add_co_u32_e32 v68, vcc, s8, v53
	v_mov_b32_e32 v58, s9
	v_addc_co_u32_e32 v69, vcc, 0, v58, vcc
	v_add_co_u32_e32 v62, vcc, 0x1200, v68
	v_addc_co_u32_e32 v63, vcc, 0, v69, vcc
	v_add_co_u32_e32 v64, vcc, 0x1000, v68
	v_addc_co_u32_e32 v65, vcc, 0, v69, vcc
	global_load_dwordx2 v[64:65], v[64:65], off offset:512
	ds_read2_b64 v[58:61], v53 offset1:36
	s_waitcnt vmcnt(0) lgkmcnt(0)
	v_mul_f32_e32 v66, v59, v65
	v_mul_f32_e32 v67, v58, v65
	v_fma_f32 v66, v58, v64, -v66
	v_fmac_f32_e32 v67, v59, v64
	global_load_dwordx2 v[58:59], v[62:63], off offset:288
	s_waitcnt vmcnt(0)
	v_mul_f32_e32 v64, v61, v59
	v_mul_f32_e32 v65, v60, v59
	v_fma_f32 v64, v60, v58, -v64
	v_fmac_f32_e32 v65, v61, v58
	ds_write2_b64 v53, v[66:67], v[64:65] offset1:36
	global_load_dwordx2 v[64:65], v[62:63], off offset:576
	ds_read2_b64 v[58:61], v53 offset0:72 offset1:108
	s_waitcnt vmcnt(0) lgkmcnt(0)
	v_mul_f32_e32 v66, v59, v65
	v_mul_f32_e32 v67, v58, v65
	v_fma_f32 v66, v58, v64, -v66
	v_fmac_f32_e32 v67, v59, v64
	global_load_dwordx2 v[58:59], v[62:63], off offset:864
	s_waitcnt vmcnt(0)
	v_mul_f32_e32 v64, v61, v59
	v_mul_f32_e32 v65, v60, v59
	v_fma_f32 v64, v60, v58, -v64
	v_fmac_f32_e32 v65, v61, v58
	ds_write2_b64 v53, v[66:67], v[64:65] offset0:72 offset1:108
	global_load_dwordx2 v[64:65], v[62:63], off offset:1152
	ds_read2_b64 v[58:61], v53 offset0:144 offset1:180
	s_waitcnt vmcnt(0) lgkmcnt(0)
	v_mul_f32_e32 v66, v59, v65
	v_mul_f32_e32 v67, v58, v65
	v_fma_f32 v66, v58, v64, -v66
	v_fmac_f32_e32 v67, v59, v64
	global_load_dwordx2 v[58:59], v[62:63], off offset:1440
	s_waitcnt vmcnt(0)
	v_mul_f32_e32 v64, v61, v59
	v_mul_f32_e32 v65, v60, v59
	v_fma_f32 v64, v60, v58, -v64
	v_fmac_f32_e32 v65, v61, v58
	ds_write2_b64 v53, v[66:67], v[64:65] offset0:144 offset1:180
	;; [unrolled: 14-line block ×5, first 2 shown]
	global_load_dwordx2 v[64:65], v[62:63], off offset:3456
	ds_read2_b64 v[58:61], v57 offset0:176 offset1:212
	s_waitcnt vmcnt(0) lgkmcnt(0)
	v_mul_f32_e32 v66, v59, v65
	v_mul_f32_e32 v67, v58, v65
	v_fma_f32 v66, v58, v64, -v66
	v_fmac_f32_e32 v67, v59, v64
	global_load_dwordx2 v[58:59], v[62:63], off offset:3744
	s_waitcnt vmcnt(0)
	v_mul_f32_e32 v65, v60, v59
	v_mul_f32_e32 v64, v61, v59
	v_fmac_f32_e32 v65, v61, v58
	global_load_dwordx2 v[61:62], v[62:63], off offset:4032
	v_fma_f32 v64, v60, v58, -v64
	ds_write2_b64 v57, v[66:67], v[64:65] offset0:176 offset1:212
	v_add_u32_e32 v65, 0xc00, v53
	ds_read2_b64 v[57:60], v65 offset0:120 offset1:156
	s_waitcnt vmcnt(0) lgkmcnt(0)
	v_mul_f32_e32 v63, v58, v62
	v_fma_f32 v63, v57, v61, -v63
	v_mul_f32_e32 v64, v57, v62
	v_add_co_u32_e32 v57, vcc, 0x2000, v68
	v_fmac_f32_e32 v64, v58, v61
	v_addc_co_u32_e32 v58, vcc, 0, v69, vcc
	global_load_dwordx2 v[57:58], v[57:58], off offset:736
	s_waitcnt vmcnt(0)
	v_mul_f32_e32 v61, v60, v58
	v_mul_f32_e32 v62, v59, v58
	v_fma_f32 v61, v59, v57, -v61
	v_fmac_f32_e32 v62, v60, v57
	ds_write2_b64 v65, v[63:64], v[61:62] offset0:120 offset1:156
.LBB0_9:
	s_or_b64 exec, exec, s[2:3]
	s_waitcnt lgkmcnt(0)
	s_barrier
	s_and_saveexec_b64 s[2:3], s[0:1]
	s_cbranch_execz .LBB0_11
; %bb.10:
	ds_read2_b64 v[36:39], v53 offset1:36
	ds_read2_b64 v[40:43], v53 offset0:72 offset1:108
	ds_read2_b64 v[44:47], v53 offset0:144 offset1:180
	;; [unrolled: 1-line block ×3, first 2 shown]
	v_add_u32_e32 v28, 0x800, v53
	ds_read2_b64 v[8:11], v28 offset0:32 offset1:68
	ds_read2_b64 v[24:27], v28 offset0:104 offset1:140
	;; [unrolled: 1-line block ×3, first 2 shown]
	v_add_u32_e32 v32, 0xc00, v53
	ds_read2_b64 v[32:35], v32 offset0:120 offset1:156
.LBB0_11:
	s_or_b64 exec, exec, s[2:3]
	s_waitcnt lgkmcnt(0)
	s_barrier
	s_and_saveexec_b64 s[2:3], s[0:1]
	s_cbranch_execz .LBB0_13
; %bb.12:
	v_sub_f32_e32 v59, v37, v9
	v_sub_f32_e32 v29, v45, v29
	;; [unrolled: 1-line block ×5, first 2 shown]
	v_fma_f32 v37, v37, 2.0, -v59
	v_fma_f32 v8, v45, 2.0, -v29
	v_sub_f32_e32 v64, v39, v11
	v_sub_f32_e32 v31, v47, v31
	v_sub_f32_e32 v45, v37, v8
	v_fma_f32 v40, v40, 2.0, -v62
	v_fma_f32 v8, v20, 2.0, -v32
	v_sub_f32_e32 v9, v22, v34
	v_sub_f32_e32 v26, v42, v26
	;; [unrolled: 1-line block ×4, first 2 shown]
	v_fma_f32 v39, v39, 2.0, -v64
	v_fma_f32 v8, v47, 2.0, -v31
	v_sub_f32_e32 v27, v43, v27
	v_sub_f32_e32 v35, v23, v35
	v_add_f32_e32 v69, v31, v68
	v_sub_f32_e32 v47, v39, v8
	v_fma_f32 v31, v42, 2.0, -v26
	v_fma_f32 v8, v22, 2.0, -v9
	v_sub_f32_e32 v28, v44, v28
	v_sub_f32_e32 v33, v21, v33
	;; [unrolled: 1-line block ×3, first 2 shown]
	v_add_f32_e32 v72, v29, v71
	v_sub_f32_e32 v42, v31, v8
	v_fma_f32 v43, v43, 2.0, -v27
	v_fma_f32 v8, v23, 2.0, -v35
	v_sub_f32_e32 v57, v41, v25
	v_sub_f32_e32 v60, v59, v28
	v_add_f32_e32 v63, v33, v62
	v_add_f32_e32 v67, v35, v26
	v_mov_b32_e32 v73, v72
	v_sub_f32_e32 v35, v43, v8
	v_fma_f32 v38, v38, 2.0, -v68
	v_fma_f32 v8, v46, 2.0, -v30
	v_sub_f32_e32 v58, v57, v32
	v_mov_b32_e32 v61, v60
	v_sub_f32_e32 v65, v64, v30
	v_fmac_f32_e32 v73, 0x3f3504f3, v63
	v_sub_f32_e32 v46, v38, v8
	v_fma_f32 v30, v41, 2.0, -v57
	v_fma_f32 v8, v21, 2.0, -v33
	v_fmac_f32_e32 v61, 0x3f3504f3, v58
	v_sub_f32_e32 v34, v27, v9
	v_fmac_f32_e32 v73, 0x3f3504f3, v58
	v_sub_f32_e32 v21, v30, v8
	v_fma_f32 v8, v44, 2.0, -v28
	v_fma_f32 v28, v57, 2.0, -v58
	;; [unrolled: 1-line block ×3, first 2 shown]
	v_fmac_f32_e32 v61, 0xbf3504f3, v63
	v_mov_b32_e32 v66, v65
	v_mov_b32_e32 v70, v69
	v_fma_f32 v32, v62, 2.0, -v63
	v_fma_f32 v27, v27, 2.0, -v34
	v_mov_b32_e32 v62, v58
	v_fma_f32 v63, v68, 2.0, -v69
	v_fmac_f32_e32 v66, 0x3f3504f3, v34
	v_fmac_f32_e32 v70, 0x3f3504f3, v67
	v_fmac_f32_e32 v62, 0xbf3504f3, v27
	v_fma_f32 v26, v26, 2.0, -v67
	v_mov_b32_e32 v64, v63
	v_fmac_f32_e32 v66, 0xbf3504f3, v67
	v_fmac_f32_e32 v70, 0x3f3504f3, v34
	;; [unrolled: 1-line block ×4, first 2 shown]
	v_fma_f32 v78, v38, 2.0, -v46
	v_fma_f32 v26, v31, 2.0, -v42
	;; [unrolled: 1-line block ×3, first 2 shown]
	v_sub_f32_e32 v75, v47, v42
	v_add_f32_e32 v76, v35, v46
	v_fma_f32 v36, v36, 2.0, -v71
	v_fma_f32 v67, v71, 2.0, -v72
	;; [unrolled: 1-line block ×3, first 2 shown]
	v_sub_f32_e32 v42, v78, v26
	v_fma_f32 v26, v43, 2.0, -v35
	v_fma_f32 v35, v65, 2.0, -v66
	v_mov_b32_e32 v37, v34
	v_fmac_f32_e32 v37, 0xbec3ef15, v35
	v_fma_f32 v38, v69, 2.0, -v70
	v_fmac_f32_e32 v37, 0xbf6c835e, v38
	v_sub_f32_e32 v44, v36, v8
	v_fma_f32 v41, v34, 2.0, -v37
	v_fma_f32 v34, v72, 2.0, -v73
	;; [unrolled: 1-line block ×3, first 2 shown]
	v_mov_b32_e32 v36, v34
	v_fmac_f32_e32 v36, 0xbec3ef15, v38
	v_sub_f32_e32 v74, v45, v20
	v_fmac_f32_e32 v36, 0x3f6c835e, v35
	v_fma_f32 v20, v40, 2.0, -v20
	v_fma_f32 v40, v34, 2.0, -v36
	;; [unrolled: 1-line block ×4, first 2 shown]
	v_mov_b32_e32 v35, v34
	v_add_f32_e32 v77, v21, v44
	v_fmac_f32_e32 v35, 0xbf3504f3, v38
	v_fma_f32 v45, v46, 2.0, -v76
	v_fma_f32 v59, v59, 2.0, -v60
	v_fmac_f32_e32 v35, 0xbf3504f3, v45
	v_fma_f32 v44, v44, 2.0, -v77
	v_mov_b32_e32 v57, v59
	v_fma_f32 v80, v39, 2.0, -v47
	v_fma_f32 v39, v34, 2.0, -v35
	v_mov_b32_e32 v34, v44
	v_fmac_f32_e32 v57, 0xbf3504f3, v28
	v_fmac_f32_e32 v34, 0xbf3504f3, v45
	;; [unrolled: 1-line block ×4, first 2 shown]
	v_mov_b32_e32 v29, v57
	v_mov_b32_e32 v68, v67
	v_fma_f32 v21, v30, 2.0, -v21
	v_fma_f32 v38, v44, 2.0, -v34
	;; [unrolled: 1-line block ×3, first 2 shown]
	v_fmac_f32_e32 v29, 0x3ec3ef15, v62
	v_fmac_f32_e32 v64, 0x3f3504f3, v27
	v_fmac_f32_e32 v68, 0xbf3504f3, v32
	v_sub_f32_e32 v21, v71, v21
	v_fma_f32 v46, v58, 2.0, -v62
	v_mov_b32_e32 v45, v44
	v_fmac_f32_e32 v29, 0xbf6c835e, v64
	v_fmac_f32_e32 v68, 0x3f3504f3, v28
	v_sub_f32_e32 v27, v21, v42
	v_sub_f32_e32 v20, v79, v20
	;; [unrolled: 1-line block ×3, first 2 shown]
	v_fmac_f32_e32 v45, 0xbf6c835e, v46
	v_fma_f32 v47, v63, 2.0, -v64
	v_fma_f32 v33, v57, 2.0, -v29
	;; [unrolled: 1-line block ×3, first 2 shown]
	v_add_f32_e32 v26, v43, v20
	v_fmac_f32_e32 v45, 0xbec3ef15, v47
	v_fma_f32 v57, v67, 2.0, -v68
	v_fma_f32 v21, v71, 2.0, -v21
	;; [unrolled: 1-line block ×4, first 2 shown]
	v_mov_b32_e32 v44, v57
	v_sub_f32_e32 v43, v21, v43
	v_mov_b32_e32 v11, v61
	v_mov_b32_e32 v10, v73
	;; [unrolled: 1-line block ×5, first 2 shown]
	v_fma_f32 v30, v20, 2.0, -v26
	v_fmac_f32_e32 v44, 0xbf6c835e, v47
	v_fma_f32 v58, v21, 2.0, -v43
	v_fma_f32 v20, v79, 2.0, -v20
	;; [unrolled: 1-line block ×3, first 2 shown]
	v_fmac_f32_e32 v11, 0x3f6c835e, v66
	v_fmac_f32_e32 v10, 0x3f6c835e, v70
	;; [unrolled: 1-line block ×6, first 2 shown]
	v_sub_f32_e32 v42, v20, v21
	v_fmac_f32_e32 v11, 0xbec3ef15, v70
	v_fmac_f32_e32 v10, 0x3ec3ef15, v66
	;; [unrolled: 1-line block ×5, first 2 shown]
	v_fma_f32 v59, v57, 2.0, -v44
	v_fma_f32 v57, v20, 2.0, -v42
	v_lshlrev_b32_e32 v20, 3, v55
	v_fma_f32 v25, v61, 2.0, -v11
	v_fma_f32 v24, v73, 2.0, -v10
	;; [unrolled: 1-line block ×5, first 2 shown]
	ds_write_b128 v20, v[57:60]
	ds_write_b128 v20, v[38:41] offset:16
	ds_write_b128 v20, v[30:33] offset:32
	;; [unrolled: 1-line block ×7, first 2 shown]
.LBB0_13:
	s_or_b64 exec, exec, s[2:3]
	s_waitcnt lgkmcnt(0)
	s_barrier
	ds_read2_b64 v[20:23], v53 offset1:96
	v_add_u32_e32 v9, 0x400, v53
	ds_read2_b64 v[24:27], v9 offset0:64 offset1:160
	v_add_u32_e32 v8, 0x800, v53
	ds_read2_b64 v[28:31], v8 offset0:128 offset1:224
	s_waitcnt lgkmcnt(2)
	v_mul_f32_e32 v10, v5, v23
	v_mul_f32_e32 v5, v5, v22
	v_fmac_f32_e32 v10, v4, v22
	v_fma_f32 v5, v4, v23, -v5
	s_waitcnt lgkmcnt(1)
	v_mul_f32_e32 v4, v7, v25
	v_mul_f32_e32 v7, v7, v24
	v_fmac_f32_e32 v4, v6, v24
	v_fma_f32 v6, v6, v25, -v7
	v_mul_f32_e32 v7, v1, v27
	v_mul_f32_e32 v1, v1, v26
	v_fmac_f32_e32 v7, v0, v26
	v_fma_f32 v0, v0, v27, -v1
	s_waitcnt lgkmcnt(0)
	v_mul_f32_e32 v1, v3, v29
	v_fmac_f32_e32 v1, v2, v28
	v_mul_f32_e32 v3, v3, v28
	v_add_f32_e32 v23, v4, v1
	v_fma_f32 v2, v2, v29, -v3
	v_add_f32_e32 v22, v20, v4
	v_fma_f32 v20, -0.5, v23, v20
	v_sub_f32_e32 v23, v6, v2
	v_mov_b32_e32 v24, v20
	v_fmac_f32_e32 v24, 0xbf5db3d7, v23
	v_fmac_f32_e32 v20, 0x3f5db3d7, v23
	v_add_f32_e32 v23, v21, v6
	v_add_f32_e32 v23, v23, v2
	;; [unrolled: 1-line block ×3, first 2 shown]
	v_fma_f32 v21, -0.5, v2, v21
	v_mul_f32_e32 v3, v50, v31
	v_add_f32_e32 v22, v22, v1
	v_sub_f32_e32 v1, v4, v1
	v_mov_b32_e32 v25, v21
	v_fmac_f32_e32 v3, v49, v30
	v_fmac_f32_e32 v25, 0x3f5db3d7, v1
	;; [unrolled: 1-line block ×3, first 2 shown]
	v_add_f32_e32 v1, v10, v7
	v_mul_f32_e32 v11, v50, v30
	v_add_f32_e32 v6, v1, v3
	v_add_f32_e32 v1, v7, v3
	v_fma_f32 v11, v49, v31, -v11
	v_fmac_f32_e32 v10, -0.5, v1
	v_sub_f32_e32 v1, v0, v11
	v_mov_b32_e32 v26, v10
	v_fmac_f32_e32 v26, 0xbf5db3d7, v1
	v_fmac_f32_e32 v10, 0x3f5db3d7, v1
	v_add_f32_e32 v1, v5, v0
	v_add_f32_e32 v0, v0, v11
	v_fmac_f32_e32 v5, -0.5, v0
	v_sub_f32_e32 v0, v7, v3
	v_mov_b32_e32 v3, v5
	v_fmac_f32_e32 v3, 0x3f5db3d7, v0
	v_fmac_f32_e32 v5, 0xbf5db3d7, v0
	v_mul_f32_e32 v7, 0xbf5db3d7, v3
	v_mul_f32_e32 v28, 0.5, v3
	v_add_f32_e32 v27, v1, v11
	v_fmac_f32_e32 v7, 0.5, v26
	v_mul_f32_e32 v11, 0xbf5db3d7, v5
	v_fmac_f32_e32 v28, 0x3f5db3d7, v26
	v_mul_f32_e32 v26, -0.5, v5
	v_fmac_f32_e32 v11, -0.5, v10
	v_fmac_f32_e32 v26, 0x3f5db3d7, v10
	v_add_f32_e32 v0, v22, v6
	v_add_f32_e32 v2, v24, v7
	;; [unrolled: 1-line block ×6, first 2 shown]
	v_sub_f32_e32 v6, v22, v6
	v_sub_f32_e32 v10, v24, v7
	;; [unrolled: 1-line block ×6, first 2 shown]
	s_barrier
	ds_write2_b64 v56, v[0:1], v[2:3] offset1:16
	ds_write2_b64 v56, v[4:5], v[6:7] offset0:32 offset1:48
	ds_write2_b64 v56, v[10:11], v[20:21] offset0:64 offset1:80
	s_waitcnt lgkmcnt(0)
	s_barrier
	ds_read2_b64 v[0:3], v53 offset1:96
	ds_read2_b64 v[4:7], v9 offset0:64 offset1:160
	ds_read2_b64 v[20:23], v8 offset0:128 offset1:224
	s_waitcnt lgkmcnt(2)
	v_mul_f32_e32 v10, v17, v3
	v_fmac_f32_e32 v10, v16, v2
	v_mul_f32_e32 v2, v17, v2
	v_fma_f32 v11, v16, v3, -v2
	s_waitcnt lgkmcnt(1)
	v_mul_f32_e32 v2, v19, v5
	v_fmac_f32_e32 v2, v18, v4
	v_mul_f32_e32 v3, v19, v4
	v_mul_f32_e32 v4, v13, v7
	v_fma_f32 v3, v18, v5, -v3
	v_fmac_f32_e32 v4, v12, v6
	v_mul_f32_e32 v5, v13, v6
	s_waitcnt lgkmcnt(0)
	v_mul_f32_e32 v6, v15, v21
	v_fmac_f32_e32 v6, v14, v20
	v_fma_f32 v5, v12, v7, -v5
	v_mul_f32_e32 v7, v15, v20
	v_add_f32_e32 v15, v2, v6
	v_fma_f32 v7, v14, v21, -v7
	v_fma_f32 v15, -0.5, v15, v0
	v_add_f32_e32 v14, v0, v2
	v_sub_f32_e32 v0, v3, v7
	v_mov_b32_e32 v16, v15
	v_fmac_f32_e32 v16, 0xbf5db3d7, v0
	v_fmac_f32_e32 v15, 0x3f5db3d7, v0
	v_add_f32_e32 v0, v1, v3
	v_add_f32_e32 v17, v0, v7
	;; [unrolled: 1-line block ×3, first 2 shown]
	v_fma_f32 v18, -0.5, v0, v1
	v_mul_f32_e32 v12, v52, v23
	v_sub_f32_e32 v0, v2, v6
	v_mov_b32_e32 v19, v18
	v_fmac_f32_e32 v12, v51, v22
	v_fmac_f32_e32 v19, 0x3f5db3d7, v0
	;; [unrolled: 1-line block ×3, first 2 shown]
	v_add_f32_e32 v0, v10, v4
	v_mul_f32_e32 v13, v52, v22
	v_add_f32_e32 v14, v14, v6
	v_add_f32_e32 v6, v0, v12
	;; [unrolled: 1-line block ×3, first 2 shown]
	v_fma_f32 v13, v51, v23, -v13
	v_fmac_f32_e32 v10, -0.5, v0
	v_sub_f32_e32 v0, v5, v13
	v_mov_b32_e32 v3, v10
	v_fmac_f32_e32 v3, 0xbf5db3d7, v0
	v_fmac_f32_e32 v10, 0x3f5db3d7, v0
	v_add_f32_e32 v0, v11, v5
	v_add_f32_e32 v7, v0, v13
	;; [unrolled: 1-line block ×3, first 2 shown]
	v_fmac_f32_e32 v11, -0.5, v0
	v_sub_f32_e32 v0, v4, v12
	v_mov_b32_e32 v5, v11
	v_fmac_f32_e32 v5, 0x3f5db3d7, v0
	v_fmac_f32_e32 v11, 0xbf5db3d7, v0
	v_mul_f32_e32 v12, 0xbf5db3d7, v5
	v_mul_f32_e32 v20, 0.5, v5
	v_fmac_f32_e32 v12, 0.5, v3
	v_mul_f32_e32 v13, 0xbf5db3d7, v11
	v_fmac_f32_e32 v20, 0x3f5db3d7, v3
	v_mul_f32_e32 v21, -0.5, v11
	v_add_f32_e32 v0, v14, v6
	v_add_f32_e32 v2, v16, v12
	v_fmac_f32_e32 v13, -0.5, v10
	v_add_f32_e32 v1, v17, v7
	v_add_f32_e32 v3, v19, v20
	v_fmac_f32_e32 v21, 0x3f5db3d7, v10
	v_add_f32_e32 v4, v15, v13
	v_add_f32_e32 v5, v18, v21
	v_sub_f32_e32 v6, v14, v6
	v_sub_f32_e32 v10, v16, v12
	v_sub_f32_e32 v12, v15, v13
	v_sub_f32_e32 v7, v17, v7
	v_sub_f32_e32 v11, v19, v20
	v_sub_f32_e32 v13, v18, v21
	ds_write2_b64 v53, v[0:1], v[2:3] offset1:96
	ds_write2_b64 v9, v[4:5], v[6:7] offset0:64 offset1:160
	ds_write2_b64 v8, v[10:11], v[12:13] offset0:128 offset1:224
	s_waitcnt lgkmcnt(0)
	s_barrier
	s_and_b64 exec, exec, s[0:1]
	s_cbranch_execz .LBB0_15
; %bb.14:
	global_load_dwordx2 v[10:11], v53, s[8:9]
	global_load_dwordx2 v[12:13], v53, s[8:9] offset:288
	global_load_dwordx2 v[14:15], v53, s[8:9] offset:576
	;; [unrolled: 1-line block ×4, first 2 shown]
	ds_read_b64 v[22:23], v53
	ds_read2_b64 v[0:3], v53 offset0:36 offset1:72
	ds_read2_b64 v[4:7], v53 offset0:108 offset1:144
	global_load_dwordx2 v[26:27], v53, s[8:9] offset:1440
	global_load_dwordx2 v[28:29], v53, s[8:9] offset:1728
	v_mad_u64_u32 v[20:21], s[0:1], s6, v48, 0
	v_mad_u64_u32 v[24:25], s[2:3], s4, v54, 0
	s_mul_i32 s3, s5, 0x120
	s_mul_hi_u32 s6, s4, 0x120
	s_add_i32 s3, s6, s3
	s_waitcnt lgkmcnt(2)
	v_mad_u64_u32 v[32:33], s[6:7], s7, v48, v[21:22]
	s_mul_i32 s2, s4, 0x120
	v_mov_b32_e32 v35, s11
	v_mov_b32_e32 v21, v32
	v_lshlrev_b64 v[20:21], 3, v[20:21]
	v_mov_b32_e32 v36, s3
	v_add_co_u32_e32 v20, vcc, s10, v20
	v_addc_co_u32_e32 v21, vcc, v35, v21, vcc
	ds_read_b64 v[30:31], v53 offset:2304
	s_mov_b32 s0, 0x1c71c71c
	s_mov_b32 s1, 0x3f5c71c7
	v_mov_b32_e32 v40, s3
	s_waitcnt vmcnt(5) lgkmcnt(2)
	v_mul_f32_e32 v35, v1, v13
	v_mul_f32_e32 v13, v0, v13
	s_waitcnt vmcnt(3) lgkmcnt(1)
	v_mul_f32_e32 v37, v5, v17
	v_mul_f32_e32 v17, v4, v17
	v_fmac_f32_e32 v35, v0, v12
	v_fma_f32 v12, v12, v1, -v13
	s_waitcnt vmcnt(1)
	v_mad_u64_u32 v[33:34], s[4:5], s5, v54, v[25:26]
	v_mov_b32_e32 v34, s3
	v_mul_f32_e32 v38, v7, v19
	v_mov_b32_e32 v25, v33
	v_lshlrev_b64 v[24:25], 3, v[24:25]
	v_fmac_f32_e32 v37, v4, v16
	v_add_co_u32_e32 v20, vcc, v20, v24
	v_addc_co_u32_e32 v21, vcc, v21, v25, vcc
	v_add_co_u32_e32 v24, vcc, s2, v20
	v_addc_co_u32_e32 v25, vcc, v21, v36, vcc
	;; [unrolled: 2-line block ×3, first 2 shown]
	v_mul_f32_e32 v34, v23, v11
	v_mul_f32_e32 v11, v22, v11
	v_fmac_f32_e32 v34, v22, v10
	v_fma_f32 v22, v10, v23, -v11
	global_load_dwordx2 v[10:11], v53, s[8:9] offset:2016
	v_mul_f32_e32 v36, v3, v15
	v_mul_f32_e32 v15, v2, v15
	v_fmac_f32_e32 v36, v2, v14
	v_fma_f32 v23, v14, v3, -v15
	v_cvt_f64_f32_e32 v[0:1], v34
	v_cvt_f64_f32_e32 v[2:3], v22
	v_fma_f32 v39, v16, v5, -v17
	v_cvt_f64_f32_e32 v[4:5], v35
	v_cvt_f64_f32_e32 v[12:13], v12
	v_fmac_f32_e32 v38, v6, v18
	v_cvt_f64_f32_e32 v[14:15], v36
	v_cvt_f64_f32_e32 v[16:17], v23
	;; [unrolled: 1-line block ×5, first 2 shown]
	global_load_dwordx2 v[38:39], v53, s[8:9] offset:2304
	v_mul_f64 v[0:1], v[0:1], s[0:1]
	v_mul_f64 v[2:3], v[2:3], s[0:1]
	;; [unrolled: 1-line block ×8, first 2 shown]
	v_cvt_f32_f64_e32 v0, v[0:1]
	v_cvt_f32_f64_e32 v1, v[2:3]
	v_cvt_f32_f64_e32 v2, v[4:5]
	v_cvt_f32_f64_e32 v3, v[12:13]
	v_cvt_f32_f64_e32 v4, v[14:15]
	v_cvt_f32_f64_e32 v5, v[16:17]
	global_store_dwordx2 v[20:21], v[0:1], off
	global_store_dwordx2 v[24:25], v[2:3], off
	;; [unrolled: 1-line block ×3, first 2 shown]
	global_load_dwordx2 v[4:5], v53, s[8:9] offset:2592
	v_mul_f32_e32 v0, v6, v19
	v_fma_f32 v0, v18, v7, -v0
	global_load_dwordx2 v[18:19], v53, s[8:9] offset:2880
	v_mul_f64 v[14:15], v[36:37], s[0:1]
	v_cvt_f64_f32_e32 v[6:7], v0
	ds_read2_b64 v[0:3], v53 offset0:180 offset1:216
	v_cvt_f32_f64_e32 v12, v[22:23]
	v_cvt_f32_f64_e32 v13, v[34:35]
	v_add_co_u32_e32 v16, vcc, s2, v32
	v_mul_f64 v[6:7], v[6:7], s[0:1]
	v_addc_co_u32_e32 v17, vcc, v33, v40, vcc
	global_store_dwordx2 v[16:17], v[12:13], off
	s_waitcnt lgkmcnt(0)
	v_mul_f32_e32 v13, v1, v27
	v_fmac_f32_e32 v13, v0, v26
	v_cvt_f32_f64_e32 v12, v[14:15]
	v_cvt_f64_f32_e32 v[14:15], v13
	v_cvt_f32_f64_e32 v13, v[6:7]
	v_mov_b32_e32 v20, s3
	v_mul_f32_e32 v0, v0, v27
	v_mul_f64 v[6:7], v[14:15], s[0:1]
	v_add_co_u32_e32 v14, vcc, s2, v16
	v_addc_co_u32_e32 v15, vcc, v17, v20, vcc
	global_load_dwordx2 v[16:17], v53, s[8:9] offset:3168
	v_fma_f32 v0, v26, v1, -v0
	v_cvt_f64_f32_e32 v[0:1], v0
	global_store_dwordx2 v[14:15], v[12:13], off
	s_waitcnt vmcnt(10)
	v_mul_f32_e32 v12, v3, v29
	v_fmac_f32_e32 v12, v2, v28
	v_mul_f64 v[0:1], v[0:1], s[0:1]
	v_cvt_f64_f32_e32 v[12:13], v12
	v_cvt_f32_f64_e32 v6, v[6:7]
	v_mov_b32_e32 v22, s3
	v_add_co_u32_e32 v14, vcc, s2, v14
	v_mul_f64 v[12:13], v[12:13], s[0:1]
	v_addc_co_u32_e32 v15, vcc, v15, v22, vcc
	v_cvt_f32_f64_e32 v7, v[0:1]
	v_mul_f32_e32 v0, v2, v29
	v_fma_f32 v0, v28, v3, -v0
	v_cvt_f64_f32_e32 v[20:21], v0
	ds_read2_b64 v[0:3], v9 offset0:124 offset1:196
	global_store_dwordx2 v[14:15], v[6:7], off
	v_cvt_f32_f64_e32 v9, v[12:13]
	v_mul_f64 v[6:7], v[20:21], s[0:1]
	v_mov_b32_e32 v20, s3
	s_waitcnt vmcnt(10) lgkmcnt(0)
	v_mul_f32_e32 v12, v1, v11
	v_fmac_f32_e32 v12, v0, v10
	v_mul_f32_e32 v0, v0, v11
	v_fma_f32 v0, v10, v1, -v0
	v_cvt_f64_f32_e32 v[12:13], v12
	v_cvt_f64_f32_e32 v[0:1], v0
	v_cvt_f32_f64_e32 v10, v[6:7]
	v_add_co_u32_e32 v11, vcc, s2, v14
	v_mul_f64 v[6:7], v[12:13], s[0:1]
	v_mul_f64 v[0:1], v[0:1], s[0:1]
	v_addc_co_u32_e32 v12, vcc, v15, v20, vcc
	global_store_dwordx2 v[11:12], v[9:10], off
	s_waitcnt vmcnt(10)
	v_mul_f32_e32 v9, v31, v39
	v_fmac_f32_e32 v9, v30, v38
	v_cvt_f64_f32_e32 v[9:10], v9
	v_cvt_f32_f64_e32 v6, v[6:7]
	v_cvt_f32_f64_e32 v7, v[0:1]
	v_mov_b32_e32 v13, s3
	v_mul_f64 v[0:1], v[9:10], s[0:1]
	v_mul_f32_e32 v9, v30, v39
	v_fma_f32 v9, v38, v31, -v9
	v_cvt_f64_f32_e32 v[9:10], v9
	v_add_co_u32_e32 v11, vcc, s2, v11
	v_addc_co_u32_e32 v12, vcc, v12, v13, vcc
	global_store_dwordx2 v[11:12], v[6:7], off
	v_mul_f64 v[6:7], v[9:10], s[0:1]
	v_cvt_f32_f64_e32 v9, v[0:1]
	s_waitcnt vmcnt(7)
	v_mul_f32_e32 v0, v3, v5
	v_fmac_f32_e32 v0, v2, v4
	v_mul_f32_e32 v2, v2, v5
	v_fma_f32 v2, v4, v3, -v2
	v_cvt_f64_f32_e32 v[0:1], v0
	v_cvt_f64_f32_e32 v[2:3], v2
	v_cvt_f32_f64_e32 v10, v[6:7]
	v_add_co_u32_e32 v11, vcc, s2, v11
	v_mul_f64 v[4:5], v[0:1], s[0:1]
	v_mul_f64 v[6:7], v[2:3], s[0:1]
	ds_read2_b64 v[0:3], v8 offset0:104 offset1:140
	v_addc_co_u32_e32 v12, vcc, v12, v13, vcc
	global_store_dwordx2 v[11:12], v[9:10], off
	v_mov_b32_e32 v10, s3
	v_add_co_u32_e32 v9, vcc, s2, v11
	v_cvt_f32_f64_e32 v4, v[4:5]
	v_cvt_f32_f64_e32 v5, v[6:7]
	s_waitcnt vmcnt(7) lgkmcnt(0)
	v_mul_f32_e32 v6, v1, v19
	v_fmac_f32_e32 v6, v0, v18
	v_mul_f32_e32 v0, v0, v19
	v_fma_f32 v0, v18, v1, -v0
	v_cvt_f64_f32_e32 v[6:7], v6
	v_cvt_f64_f32_e32 v[0:1], v0
	v_addc_co_u32_e32 v10, vcc, v12, v10, vcc
	global_store_dwordx2 v[9:10], v[4:5], off
	v_mul_f64 v[4:5], v[6:7], s[0:1]
	v_mul_f64 v[0:1], v[0:1], s[0:1]
	s_waitcnt vmcnt(6)
	v_mul_f32_e32 v6, v3, v17
	v_fmac_f32_e32 v6, v2, v16
	v_mul_f32_e32 v2, v2, v17
	v_fma_f32 v2, v16, v3, -v2
	v_cvt_f64_f32_e32 v[6:7], v6
	v_cvt_f64_f32_e32 v[2:3], v2
	v_cvt_f32_f64_e32 v4, v[4:5]
	v_cvt_f32_f64_e32 v5, v[0:1]
	v_mul_f64 v[0:1], v[6:7], s[0:1]
	v_mul_f64 v[2:3], v[2:3], s[0:1]
	v_mov_b32_e32 v7, s3
	v_add_co_u32_e32 v6, vcc, s2, v9
	v_addc_co_u32_e32 v7, vcc, v10, v7, vcc
	global_store_dwordx2 v[6:7], v[4:5], off
	v_cvt_f32_f64_e32 v0, v[0:1]
	v_cvt_f32_f64_e32 v1, v[2:3]
	v_mov_b32_e32 v2, s3
	v_add_co_u32_e32 v4, vcc, s2, v6
	v_addc_co_u32_e32 v5, vcc, v7, v2, vcc
	global_store_dwordx2 v[4:5], v[0:1], off
	global_load_dwordx2 v[6:7], v53, s[8:9] offset:3456
	ds_read2_b64 v[0:3], v8 offset0:176 offset1:212
	s_movk_i32 s4, 0x1000
	v_mov_b32_e32 v11, s3
	s_waitcnt vmcnt(0) lgkmcnt(0)
	v_mul_f32_e32 v8, v1, v7
	v_fmac_f32_e32 v8, v0, v6
	v_mul_f32_e32 v0, v0, v7
	v_fma_f32 v0, v6, v1, -v0
	v_cvt_f64_f32_e32 v[8:9], v8
	v_cvt_f64_f32_e32 v[0:1], v0
	v_mul_f64 v[6:7], v[8:9], s[0:1]
	v_mul_f64 v[0:1], v[0:1], s[0:1]
	v_cvt_f32_f64_e32 v6, v[6:7]
	v_cvt_f32_f64_e32 v7, v[0:1]
	v_mov_b32_e32 v1, s3
	v_add_co_u32_e32 v0, vcc, s2, v4
	v_addc_co_u32_e32 v1, vcc, v5, v1, vcc
	global_store_dwordx2 v[0:1], v[6:7], off
	global_load_dwordx2 v[4:5], v53, s[8:9] offset:3744
	s_waitcnt vmcnt(0)
	v_mul_f32_e32 v6, v3, v5
	v_mul_f32_e32 v5, v2, v5
	v_fmac_f32_e32 v6, v2, v4
	v_fma_f32 v4, v4, v3, -v5
	v_cvt_f64_f32_e32 v[2:3], v6
	v_cvt_f64_f32_e32 v[4:5], v4
	v_mov_b32_e32 v6, s3
	v_mul_f64 v[2:3], v[2:3], s[0:1]
	v_mul_f64 v[4:5], v[4:5], s[0:1]
	v_cvt_f32_f64_e32 v2, v[2:3]
	v_cvt_f32_f64_e32 v3, v[4:5]
	v_add_co_u32_e32 v4, vcc, s2, v0
	v_addc_co_u32_e32 v5, vcc, v1, v6, vcc
	global_store_dwordx2 v[4:5], v[2:3], off
	global_load_dwordx2 v[6:7], v53, s[8:9] offset:4032
	v_add_u32_e32 v0, 0xc00, v53
	ds_read2_b64 v[0:3], v0 offset0:120 offset1:156
	v_add_co_u32_e32 v9, vcc, s8, v53
	s_waitcnt vmcnt(0) lgkmcnt(0)
	v_mul_f32_e32 v8, v1, v7
	v_mul_f32_e32 v7, v0, v7
	v_fmac_f32_e32 v8, v0, v6
	v_fma_f32 v6, v6, v1, -v7
	v_cvt_f64_f32_e32 v[0:1], v8
	v_cvt_f64_f32_e32 v[6:7], v6
	v_mov_b32_e32 v8, s9
	v_addc_co_u32_e32 v10, vcc, 0, v8, vcc
	v_mul_f64 v[0:1], v[0:1], s[0:1]
	v_mul_f64 v[6:7], v[6:7], s[0:1]
	v_add_co_u32_e32 v8, vcc, s4, v9
	v_addc_co_u32_e32 v9, vcc, 0, v10, vcc
	v_add_co_u32_e32 v4, vcc, s2, v4
	v_cvt_f32_f64_e32 v0, v[0:1]
	v_cvt_f32_f64_e32 v1, v[6:7]
	v_addc_co_u32_e32 v5, vcc, v5, v11, vcc
	global_store_dwordx2 v[4:5], v[0:1], off
	global_load_dwordx2 v[0:1], v[8:9], off offset:224
	s_waitcnt vmcnt(0)
	v_mul_f32_e32 v6, v3, v1
	v_mul_f32_e32 v1, v2, v1
	v_fmac_f32_e32 v6, v2, v0
	v_fma_f32 v2, v0, v3, -v1
	v_cvt_f64_f32_e32 v[0:1], v6
	v_cvt_f64_f32_e32 v[2:3], v2
	v_mov_b32_e32 v6, s3
	v_mul_f64 v[0:1], v[0:1], s[0:1]
	v_mul_f64 v[2:3], v[2:3], s[0:1]
	v_cvt_f32_f64_e32 v0, v[0:1]
	v_cvt_f32_f64_e32 v1, v[2:3]
	v_add_co_u32_e32 v2, vcc, s2, v4
	v_addc_co_u32_e32 v3, vcc, v5, v6, vcc
	global_store_dwordx2 v[2:3], v[0:1], off
.LBB0_15:
	s_endpgm
	.section	.rodata,"a",@progbits
	.p2align	6, 0x0
	.amdhsa_kernel bluestein_single_fwd_len576_dim1_sp_op_CI_CI
		.amdhsa_group_segment_fixed_size 4608
		.amdhsa_private_segment_fixed_size 0
		.amdhsa_kernarg_size 104
		.amdhsa_user_sgpr_count 6
		.amdhsa_user_sgpr_private_segment_buffer 1
		.amdhsa_user_sgpr_dispatch_ptr 0
		.amdhsa_user_sgpr_queue_ptr 0
		.amdhsa_user_sgpr_kernarg_segment_ptr 1
		.amdhsa_user_sgpr_dispatch_id 0
		.amdhsa_user_sgpr_flat_scratch_init 0
		.amdhsa_user_sgpr_private_segment_size 0
		.amdhsa_uses_dynamic_stack 0
		.amdhsa_system_sgpr_private_segment_wavefront_offset 0
		.amdhsa_system_sgpr_workgroup_id_x 1
		.amdhsa_system_sgpr_workgroup_id_y 0
		.amdhsa_system_sgpr_workgroup_id_z 0
		.amdhsa_system_sgpr_workgroup_info 0
		.amdhsa_system_vgpr_workitem_id 0
		.amdhsa_next_free_vgpr 81
		.amdhsa_next_free_sgpr 18
		.amdhsa_reserve_vcc 1
		.amdhsa_reserve_flat_scratch 0
		.amdhsa_float_round_mode_32 0
		.amdhsa_float_round_mode_16_64 0
		.amdhsa_float_denorm_mode_32 3
		.amdhsa_float_denorm_mode_16_64 3
		.amdhsa_dx10_clamp 1
		.amdhsa_ieee_mode 1
		.amdhsa_fp16_overflow 0
		.amdhsa_exception_fp_ieee_invalid_op 0
		.amdhsa_exception_fp_denorm_src 0
		.amdhsa_exception_fp_ieee_div_zero 0
		.amdhsa_exception_fp_ieee_overflow 0
		.amdhsa_exception_fp_ieee_underflow 0
		.amdhsa_exception_fp_ieee_inexact 0
		.amdhsa_exception_int_div_zero 0
	.end_amdhsa_kernel
	.text
.Lfunc_end0:
	.size	bluestein_single_fwd_len576_dim1_sp_op_CI_CI, .Lfunc_end0-bluestein_single_fwd_len576_dim1_sp_op_CI_CI
                                        ; -- End function
	.section	.AMDGPU.csdata,"",@progbits
; Kernel info:
; codeLenInByte = 7868
; NumSgprs: 22
; NumVgprs: 81
; ScratchSize: 0
; MemoryBound: 0
; FloatMode: 240
; IeeeMode: 1
; LDSByteSize: 4608 bytes/workgroup (compile time only)
; SGPRBlocks: 2
; VGPRBlocks: 20
; NumSGPRsForWavesPerEU: 22
; NumVGPRsForWavesPerEU: 81
; Occupancy: 3
; WaveLimiterHint : 1
; COMPUTE_PGM_RSRC2:SCRATCH_EN: 0
; COMPUTE_PGM_RSRC2:USER_SGPR: 6
; COMPUTE_PGM_RSRC2:TRAP_HANDLER: 0
; COMPUTE_PGM_RSRC2:TGID_X_EN: 1
; COMPUTE_PGM_RSRC2:TGID_Y_EN: 0
; COMPUTE_PGM_RSRC2:TGID_Z_EN: 0
; COMPUTE_PGM_RSRC2:TIDIG_COMP_CNT: 0
	.type	__hip_cuid_b1c9499166c98e0f,@object ; @__hip_cuid_b1c9499166c98e0f
	.section	.bss,"aw",@nobits
	.globl	__hip_cuid_b1c9499166c98e0f
__hip_cuid_b1c9499166c98e0f:
	.byte	0                               ; 0x0
	.size	__hip_cuid_b1c9499166c98e0f, 1

	.ident	"AMD clang version 19.0.0git (https://github.com/RadeonOpenCompute/llvm-project roc-6.4.0 25133 c7fe45cf4b819c5991fe208aaa96edf142730f1d)"
	.section	".note.GNU-stack","",@progbits
	.addrsig
	.addrsig_sym __hip_cuid_b1c9499166c98e0f
	.amdgpu_metadata
---
amdhsa.kernels:
  - .args:
      - .actual_access:  read_only
        .address_space:  global
        .offset:         0
        .size:           8
        .value_kind:     global_buffer
      - .actual_access:  read_only
        .address_space:  global
        .offset:         8
        .size:           8
        .value_kind:     global_buffer
      - .actual_access:  read_only
        .address_space:  global
        .offset:         16
        .size:           8
        .value_kind:     global_buffer
      - .actual_access:  read_only
        .address_space:  global
        .offset:         24
        .size:           8
        .value_kind:     global_buffer
      - .actual_access:  read_only
        .address_space:  global
        .offset:         32
        .size:           8
        .value_kind:     global_buffer
      - .offset:         40
        .size:           8
        .value_kind:     by_value
      - .address_space:  global
        .offset:         48
        .size:           8
        .value_kind:     global_buffer
      - .address_space:  global
        .offset:         56
        .size:           8
        .value_kind:     global_buffer
      - .address_space:  global
        .offset:         64
        .size:           8
        .value_kind:     global_buffer
      - .address_space:  global
        .offset:         72
        .size:           8
        .value_kind:     global_buffer
      - .offset:         80
        .size:           4
        .value_kind:     by_value
      - .address_space:  global
        .offset:         88
        .size:           8
        .value_kind:     global_buffer
      - .address_space:  global
        .offset:         96
        .size:           8
        .value_kind:     global_buffer
    .group_segment_fixed_size: 4608
    .kernarg_segment_align: 8
    .kernarg_segment_size: 104
    .language:       OpenCL C
    .language_version:
      - 2
      - 0
    .max_flat_workgroup_size: 96
    .name:           bluestein_single_fwd_len576_dim1_sp_op_CI_CI
    .private_segment_fixed_size: 0
    .sgpr_count:     22
    .sgpr_spill_count: 0
    .symbol:         bluestein_single_fwd_len576_dim1_sp_op_CI_CI.kd
    .uniform_work_group_size: 1
    .uses_dynamic_stack: false
    .vgpr_count:     81
    .vgpr_spill_count: 0
    .wavefront_size: 64
amdhsa.target:   amdgcn-amd-amdhsa--gfx906
amdhsa.version:
  - 1
  - 2
...

	.end_amdgpu_metadata
